;; amdgpu-corpus repo=ROCm/rocFFT kind=compiled arch=gfx906 opt=O3
	.text
	.amdgcn_target "amdgcn-amd-amdhsa--gfx906"
	.amdhsa_code_object_version 6
	.protected	fft_rtc_back_len168_factors_3_4_7_2_wgs_196_tpt_14_dim3_sp_ip_CI_sbcc_twdbase8_2step_dirReg_intrinsicReadWrite ; -- Begin function fft_rtc_back_len168_factors_3_4_7_2_wgs_196_tpt_14_dim3_sp_ip_CI_sbcc_twdbase8_2step_dirReg_intrinsicReadWrite
	.globl	fft_rtc_back_len168_factors_3_4_7_2_wgs_196_tpt_14_dim3_sp_ip_CI_sbcc_twdbase8_2step_dirReg_intrinsicReadWrite
	.p2align	8
	.type	fft_rtc_back_len168_factors_3_4_7_2_wgs_196_tpt_14_dim3_sp_ip_CI_sbcc_twdbase8_2step_dirReg_intrinsicReadWrite,@function
fft_rtc_back_len168_factors_3_4_7_2_wgs_196_tpt_14_dim3_sp_ip_CI_sbcc_twdbase8_2step_dirReg_intrinsicReadWrite: ; @fft_rtc_back_len168_factors_3_4_7_2_wgs_196_tpt_14_dim3_sp_ip_CI_sbcc_twdbase8_2step_dirReg_intrinsicReadWrite
; %bb.0:
	s_load_dwordx4 s[0:3], s[4:5], 0x10
	s_mov_b32 s7, 0
	s_mov_b64 s[20:21], 0
	s_waitcnt lgkmcnt(0)
	s_load_dwordx2 s[10:11], s[0:1], 0x8
	s_waitcnt lgkmcnt(0)
	s_add_u32 s8, s10, -1
	s_addc_u32 s9, s11, -1
	s_add_u32 s12, 0, 0x49240800
	s_addc_u32 s13, 0, 50
	s_mul_hi_u32 s15, s12, -14
	s_add_i32 s13, s13, 0x12492460
	s_sub_i32 s15, s15, s12
	s_mul_i32 s18, s13, -14
	s_mul_i32 s14, s12, -14
	s_add_i32 s15, s15, s18
	s_mul_hi_u32 s16, s13, s14
	s_mul_i32 s17, s13, s14
	s_mul_i32 s19, s12, s15
	s_mul_hi_u32 s14, s12, s14
	s_mul_hi_u32 s18, s12, s15
	s_add_u32 s14, s14, s19
	s_addc_u32 s18, 0, s18
	s_add_u32 s14, s14, s17
	s_mul_hi_u32 s19, s13, s15
	s_addc_u32 s14, s18, s16
	s_addc_u32 s16, s19, 0
	s_mul_i32 s15, s13, s15
	s_add_u32 s14, s14, s15
	v_mov_b32_e32 v1, s14
	s_addc_u32 s15, 0, s16
	v_add_co_u32_e32 v1, vcc, s12, v1
	s_cmp_lg_u64 vcc, 0
	s_addc_u32 s12, s13, s15
	v_readfirstlane_b32 s15, v1
	s_mul_i32 s14, s8, s12
	s_mul_hi_u32 s16, s8, s15
	s_mul_hi_u32 s13, s8, s12
	s_add_u32 s14, s16, s14
	s_addc_u32 s13, 0, s13
	s_mul_hi_u32 s17, s9, s15
	s_mul_i32 s15, s9, s15
	s_add_u32 s14, s14, s15
	s_mul_hi_u32 s16, s9, s12
	s_addc_u32 s13, s13, s17
	s_addc_u32 s14, s16, 0
	s_mul_i32 s12, s9, s12
	s_add_u32 s12, s13, s12
	s_addc_u32 s13, 0, s14
	s_add_u32 s14, s12, 1
	s_addc_u32 s15, s13, 0
	s_add_u32 s16, s12, 2
	s_mul_i32 s18, s13, 14
	s_mul_hi_u32 s19, s12, 14
	s_addc_u32 s17, s13, 0
	s_add_i32 s19, s19, s18
	s_mul_i32 s18, s12, 14
	v_mov_b32_e32 v1, s18
	v_sub_co_u32_e32 v1, vcc, s8, v1
	s_cmp_lg_u64 vcc, 0
	s_subb_u32 s8, s9, s19
	v_subrev_co_u32_e32 v2, vcc, 14, v1
	s_cmp_lg_u64 vcc, 0
	s_subb_u32 s9, s8, 0
	v_readfirstlane_b32 s18, v2
	s_cmp_gt_u32 s18, 13
	s_cselect_b32 s18, -1, 0
	s_cmp_eq_u32 s9, 0
	s_cselect_b32 s9, s18, -1
	s_cmp_lg_u32 s9, 0
	s_cselect_b32 s9, s16, s14
	s_cselect_b32 s14, s17, s15
	v_readfirstlane_b32 s15, v1
	s_cmp_gt_u32 s15, 13
	s_cselect_b32 s15, -1, 0
	s_cmp_eq_u32 s8, 0
	s_cselect_b32 s8, s15, -1
	s_cmp_lg_u32 s8, 0
	s_cselect_b32 s9, s9, s12
	s_cselect_b32 s8, s14, s13
	s_add_u32 s18, s9, 1
	s_addc_u32 s19, s8, 0
	v_mov_b32_e32 v1, s18
	v_mov_b32_e32 v2, s19
	v_cmp_lt_u64_e32 vcc, s[6:7], v[1:2]
	s_cbranch_vccnz .LBB0_2
; %bb.1:
	v_cvt_f32_u32_e32 v1, s18
	s_sub_i32 s8, 0, s18
	s_mov_b32 s21, s7
	v_rcp_iflag_f32_e32 v1, v1
	v_mul_f32_e32 v1, 0x4f7ffffe, v1
	v_cvt_u32_f32_e32 v1, v1
	v_readfirstlane_b32 s9, v1
	s_mul_i32 s8, s8, s9
	s_mul_hi_u32 s8, s9, s8
	s_add_i32 s9, s9, s8
	s_mul_hi_u32 s8, s6, s9
	s_mul_i32 s12, s8, s18
	s_sub_i32 s12, s6, s12
	s_add_i32 s9, s8, 1
	s_sub_i32 s13, s12, s18
	s_cmp_ge_u32 s12, s18
	s_cselect_b32 s8, s9, s8
	s_cselect_b32 s12, s13, s12
	s_add_i32 s9, s8, 1
	s_cmp_ge_u32 s12, s18
	s_cselect_b32 s20, s9, s8
.LBB0_2:
	s_load_dwordx2 s[22:23], s[0:1], 0x10
	s_load_dwordx2 s[8:9], s[4:5], 0x50
	;; [unrolled: 1-line block ×3, first 2 shown]
	s_load_dwordx4 s[12:15], s[2:3], 0x0
	s_mov_b64 s[0:1], s[20:21]
	s_waitcnt lgkmcnt(0)
	v_mov_b32_e32 v1, s22
	v_mov_b32_e32 v2, s23
	v_cmp_lt_u64_e32 vcc, s[20:21], v[1:2]
	s_cbranch_vccnz .LBB0_4
; %bb.3:
	v_cvt_f32_u32_e32 v1, s22
	s_sub_i32 s0, 0, s22
	v_rcp_iflag_f32_e32 v1, v1
	v_mul_f32_e32 v1, 0x4f7ffffe, v1
	v_cvt_u32_f32_e32 v1, v1
	v_readfirstlane_b32 s1, v1
	s_mul_i32 s0, s0, s1
	s_mul_hi_u32 s0, s1, s0
	s_add_i32 s1, s1, s0
	s_mul_hi_u32 s0, s20, s1
	s_mul_i32 s0, s0, s22
	s_sub_i32 s0, s20, s0
	s_sub_i32 s1, s0, s22
	s_cmp_ge_u32 s0, s22
	s_cselect_b32 s0, s1, s0
	s_sub_i32 s1, s0, s22
	s_cmp_ge_u32 s0, s22
	s_cselect_b32 s0, s1, s0
.LBB0_4:
	s_mul_i32 s1, s22, s19
	s_mul_hi_u32 s13, s22, s18
	s_add_i32 s1, s13, s1
	s_mul_i32 s13, s23, s18
	s_mul_i32 s24, s22, s18
	s_add_i32 s25, s1, s13
	s_load_dwordx2 s[22:23], s[2:3], 0x10
	v_mov_b32_e32 v1, s24
	v_mov_b32_e32 v2, s25
	v_cmp_lt_u64_e32 vcc, s[6:7], v[1:2]
	s_mov_b64 s[26:27], 0
	s_cbranch_vccnz .LBB0_6
; %bb.5:
	v_cvt_f32_u32_e32 v1, s24
	s_sub_i32 s1, 0, s24
	v_rcp_iflag_f32_e32 v1, v1
	v_mul_f32_e32 v1, 0x4f7ffffe, v1
	v_cvt_u32_f32_e32 v1, v1
	v_readfirstlane_b32 s7, v1
	s_mul_i32 s1, s1, s7
	s_mul_hi_u32 s1, s7, s1
	s_add_i32 s7, s7, s1
	s_mul_hi_u32 s1, s6, s7
	s_mul_i32 s13, s1, s24
	s_sub_i32 s13, s6, s13
	s_add_i32 s7, s1, 1
	s_sub_i32 s15, s13, s24
	s_cmp_ge_u32 s13, s24
	s_cselect_b32 s1, s7, s1
	s_cselect_b32 s13, s15, s13
	s_add_i32 s7, s1, 1
	s_cmp_ge_u32 s13, s24
	s_cselect_b32 s26, s7, s1
.LBB0_6:
	s_mul_i32 s1, s20, s19
	s_mul_hi_u32 s7, s20, s18
	s_add_i32 s7, s7, s1
	s_mul_i32 s1, s20, s18
	s_load_dword s2, s[2:3], 0x18
	s_sub_u32 s1, s6, s1
	v_mul_u32_u24_e32 v1, 0x124a, v0
	s_subb_u32 s6, 0, s7
	v_lshrrev_b32_e32 v38, 16, v1
	s_mul_i32 s6, s6, 14
	s_mul_hi_u32 s7, s1, 14
	s_mul_i32 s1, s1, 14
	v_mul_lo_u16_e32 v1, 14, v38
	s_add_i32 s6, s7, s6
	s_mul_i32 s3, s14, s1
	s_waitcnt lgkmcnt(0)
	s_mul_i32 s0, s22, s0
	v_sub_u16_e32 v28, v0, v1
	s_add_i32 s0, s0, s3
	s_mul_i32 s2, s2, s26
	v_mov_b32_e32 v1, s6
	v_add_co_u32_e32 v3, vcc, s1, v28
	s_add_i32 s7, s2, s0
	v_addc_co_u32_e32 v4, vcc, 0, v1, vcc
	v_mad_u64_u32 v[1:2], s[2:3], s14, v28, 0
	v_add_u32_e32 v32, 14, v38
	v_mul_lo_u32 v2, s12, v32
	s_add_u32 s0, s1, 14
	v_mov_b32_e32 v5, s10
	s_addc_u32 s1, s6, 0
	v_mov_b32_e32 v6, s11
	v_cmp_le_u64_e32 vcc, s[0:1], v[5:6]
	v_cmp_gt_u64_e64 s[0:1], s[10:11], v[3:4]
	v_add_lshl_u32 v4, v1, v2, 3
	v_add_u32_e32 v2, 0x46, v38
	v_mul_lo_u32 v5, s12, v2
	v_add_u32_e32 v6, 0x7e, v38
	v_mul_lo_u32 v6, s12, v6
	s_or_b64 vcc, vcc, s[0:1]
	v_cndmask_b32_e32 v10, -1, v4, vcc
	v_add_lshl_u32 v4, v1, v5, 3
	s_lshl_b32 s6, s7, 3
	s_mov_b32 s11, 0x20000
	s_mov_b32 s10, -2
	v_cndmask_b32_e32 v11, -1, v4, vcc
	v_add_lshl_u32 v4, v1, v6, 3
	v_cndmask_b32_e32 v12, -1, v4, vcc
	buffer_load_dwordx2 v[4:5], v10, s[8:11], s6 offen
	buffer_load_dwordx2 v[6:7], v11, s[8:11], s6 offen
	;; [unrolled: 1-line block ×3, first 2 shown]
	v_add_u32_e32 v33, 28, v38
	v_add_u32_e32 v11, 0x8c, v38
	;; [unrolled: 1-line block ×3, first 2 shown]
	v_mul_lo_u32 v10, s12, v33
	v_mul_lo_u32 v12, s12, v39
	;; [unrolled: 1-line block ×4, first 2 shown]
	v_add_lshl_u32 v10, v1, v10, 3
	v_add_lshl_u32 v12, v1, v12, 3
	v_add_lshl_u32 v13, v1, v13, 3
	v_cndmask_b32_e32 v10, -1, v10, vcc
	v_cndmask_b32_e32 v35, -1, v12, vcc
	;; [unrolled: 1-line block ×3, first 2 shown]
	buffer_load_dwordx2 v[10:11], v10, s[8:11], s6 offen
	s_nop 0
	buffer_load_dwordx2 v[12:13], v35, s[8:11], s6 offen
	buffer_load_dwordx2 v[14:15], v16, s[8:11], s6 offen
	v_add_lshl_u32 v16, v1, v17, 3
	v_add_u32_e32 v17, 0x70, v38
	v_mul_lo_u32 v17, s12, v17
	v_add_u32_e32 v34, 56, v38
	v_mul_lo_u32 v18, s12, v34
	v_cndmask_b32_e32 v37, -1, v16, vcc
	v_add_lshl_u32 v16, v1, v17, 3
	v_cndmask_b32_e32 v22, -1, v16, vcc
	v_add_lshl_u32 v16, v1, v18, 3
	v_cndmask_b32_e32 v23, -1, v16, vcc
	buffer_load_dwordx2 v[16:17], v23, s[8:11], s6 offen
	buffer_load_dwordx2 v[18:19], v22, s[8:11], s6 offen
	;; [unrolled: 1-line block ×3, first 2 shown]
	v_add_u32_e32 v22, 0x62, v38
	v_add_u32_e32 v36, 42, v38
	v_mul_lo_u32 v23, s12, v36
	v_mul_lo_u32 v22, s12, v22
	v_add_u32_e32 v24, 0x9a, v38
	v_mul_lo_u32 v24, s12, v24
	v_add_lshl_u32 v23, v1, v23, 3
	v_add_lshl_u32 v22, v1, v22, 3
	v_cndmask_b32_e32 v29, -1, v23, vcc
	v_cndmask_b32_e32 v30, -1, v22, vcc
	v_add_lshl_u32 v22, v1, v24, 3
	v_cndmask_b32_e32 v31, -1, v22, vcc
	buffer_load_dwordx2 v[22:23], v29, s[8:11], s6 offen
	buffer_load_dwordx2 v[24:25], v30, s[8:11], s6 offen
	;; [unrolled: 1-line block ×3, first 2 shown]
	s_movk_i32 s0, 0x3720
	s_movk_i32 s7, 0x54
	s_waitcnt vmcnt(10)
	v_add_f32_e32 v29, v4, v6
	s_waitcnt vmcnt(9)
	v_add_f32_e32 v30, v6, v8
	v_add_f32_e32 v40, v5, v7
	;; [unrolled: 1-line block ×3, first 2 shown]
	v_sub_f32_e32 v31, v7, v9
	v_sub_f32_e32 v42, v6, v8
	v_add_f32_e32 v6, v29, v8
	v_add_f32_e32 v7, v40, v9
	v_mul_u32_u24_e32 v8, 0x150, v38
	v_lshlrev_b32_e32 v40, 3, v28
	v_fma_f32 v4, -0.5, v30, v4
	v_fmac_f32_e32 v5, -0.5, v41
	v_add3_u32 v29, 0, v8, v40
	v_mov_b32_e32 v8, v4
	v_mov_b32_e32 v9, v5
	v_fmac_f32_e32 v8, 0xbf5db3d7, v31
	v_fmac_f32_e32 v9, 0x3f5db3d7, v42
	v_add_u32_e32 v28, 0x1000, v29
	ds_write2_b64 v28, v[6:7], v[8:9] offset0:76 offset1:90
	s_waitcnt vmcnt(6)
	v_add_f32_e32 v8, v12, v14
	v_add_f32_e32 v9, v13, v15
	;; [unrolled: 1-line block ×4, first 2 shown]
	v_fma_f32 v10, -0.5, v8, v10
	v_fmac_f32_e32 v11, -0.5, v9
	v_sub_f32_e32 v28, v13, v15
	v_sub_f32_e32 v12, v12, v14
	v_mov_b32_e32 v8, v10
	v_mov_b32_e32 v9, v11
	v_add_f32_e32 v6, v6, v14
	v_add_f32_e32 v7, v7, v15
	v_fmac_f32_e32 v8, 0xbf5db3d7, v28
	v_fmac_f32_e32 v9, 0x3f5db3d7, v12
	v_add_u32_e32 v13, 0x2000, v29
	ds_write2_b64 v13, v[6:7], v[8:9] offset0:152 offset1:166
	s_waitcnt vmcnt(4)
	v_add_f32_e32 v8, v16, v18
	v_add_f32_e32 v9, v17, v19
	s_waitcnt vmcnt(3)
	v_add_f32_e32 v6, v20, v16
	v_add_f32_e32 v7, v21, v17
	v_fma_f32 v20, -0.5, v8, v20
	v_fmac_f32_e32 v21, -0.5, v9
	v_sub_f32_e32 v13, v17, v19
	v_sub_f32_e32 v14, v16, v18
	v_mov_b32_e32 v8, v20
	v_mov_b32_e32 v9, v21
	v_add_f32_e32 v6, v6, v18
	v_add_f32_e32 v7, v7, v19
	v_fmac_f32_e32 v8, 0xbf5db3d7, v13
	v_fmac_f32_e32 v9, 0x3f5db3d7, v14
	ds_write2_b64 v29, v[6:7], v[8:9] offset1:14
	s_waitcnt vmcnt(1)
	v_add_f32_e32 v6, v22, v24
	s_waitcnt vmcnt(0)
	v_add_f32_e32 v8, v24, v26
	v_add_f32_e32 v15, v25, v27
	v_fmac_f32_e32 v4, 0x3f5db3d7, v31
	v_fmac_f32_e32 v5, 0xbf5db3d7, v42
	v_add_f32_e32 v6, v6, v26
	v_add_f32_e32 v7, v23, v25
	v_fmac_f32_e32 v20, 0x3f5db3d7, v13
	v_fmac_f32_e32 v21, 0xbf5db3d7, v14
	ds_write_b64 v29, v[4:5] offset:4928
	v_fmac_f32_e32 v10, 0x3f5db3d7, v28
	v_fmac_f32_e32 v11, 0xbf5db3d7, v12
	v_fmac_f32_e32 v23, -0.5, v15
	v_fma_f32 v4, -0.5, v8, v22
	v_add_f32_e32 v7, v7, v27
	v_sub_f32_e32 v9, v25, v27
	v_sub_f32_e32 v16, v24, v26
	ds_write_b64 v29, v[20:21] offset:224
	ds_write_b64 v29, v[10:11] offset:9632
	;; [unrolled: 1-line block ×3, first 2 shown]
	v_mov_b32_e32 v5, v4
	v_mov_b32_e32 v6, v23
	v_fmac_f32_e32 v5, 0xbf5db3d7, v9
	v_fmac_f32_e32 v6, 0x3f5db3d7, v16
	v_add_u32_e32 v7, 0x3400, v29
	ds_write2_b32 v7, v5, v6 offset0:228 offset1:229
	v_fmac_f32_e32 v4, 0x3f5db3d7, v9
	v_fmac_f32_e32 v23, 0xbf5db3d7, v16
	v_add_u32_e32 v5, 0x3800, v29
	v_mul_lo_u16_e32 v31, 0x56, v38
	v_mov_b32_e32 v12, 3
	ds_write2_b32 v5, v4, v23 offset1:1
	v_mul_lo_u16_sdwa v4, v31, v12 dst_sel:DWORD dst_unused:UNUSED_PAD src0_sel:BYTE_1 src1_sel:DWORD
	v_sub_u16_e32 v41, v38, v4
	v_mul_u32_u24_sdwa v4, v41, v12 dst_sel:DWORD dst_unused:UNUSED_PAD src0_sel:BYTE_0 src1_sel:DWORD
	v_lshlrev_b32_e32 v14, 3, v4
	s_waitcnt lgkmcnt(0)
	s_barrier
	global_load_dwordx4 v[4:7], v14, s[16:17]
	v_mul_lo_u16_e32 v8, 0xab, v32
	v_lshrrev_b16_e32 v44, 9, v8
	v_mul_lo_u16_e32 v8, 3, v44
	v_sub_u16_e32 v45, v32, v8
	v_mul_u32_u24_sdwa v8, v45, v12 dst_sel:DWORD dst_unused:UNUSED_PAD src0_sel:BYTE_0 src1_sel:DWORD
	v_lshlrev_b32_e32 v19, 3, v8
	global_load_dwordx4 v[8:11], v19, s[16:17]
	v_mul_lo_u16_e32 v13, 0xab, v33
	v_lshrrev_b16_e32 v46, 9, v13
	v_mul_lo_u16_e32 v13, 3, v46
	v_sub_u16_e32 v47, v33, v13
	v_mul_u32_u24_sdwa v12, v47, v12 dst_sel:DWORD dst_unused:UNUSED_PAD src0_sel:BYTE_0 src1_sel:DWORD
	v_lshlrev_b32_e32 v20, 3, v12
	global_load_dwordx4 v[15:18], v20, s[16:17]
	global_load_dwordx2 v[12:13], v14, s[16:17] offset:16
	global_load_dwordx2 v[23:24], v19, s[16:17] offset:16
	;; [unrolled: 1-line block ×3, first 2 shown]
	v_mul_i32_i24_e32 v14, 0xffffff20, v36
	v_add3_u32 v43, v29, s0, v14
	s_movk_i32 s0, 0xff20
	ds_read_b64 v[27:28], v43
	v_mad_i32_i24 v42, v38, s0, v29
	v_add_u32_e32 v14, 0x2400, v42
	ds_read2_b64 v[19:22], v14 offset0:24 offset1:220
	ds_read_b64 v[29:30], v42
	v_add_u32_e32 v14, 0x1800, v42
	s_movk_i32 s0, 0x8c
	v_cmp_gt_u32_e64 s[0:1], s0, v0
	s_waitcnt vmcnt(5) lgkmcnt(2)
	v_mul_f32_e32 v48, v5, v28
	v_mul_f32_e32 v5, v5, v27
	v_fmac_f32_e32 v48, v4, v27
	v_fma_f32 v27, v4, v28, -v5
	s_waitcnt lgkmcnt(1)
	v_mul_f32_e32 v28, v7, v20
	v_mul_f32_e32 v4, v7, v19
	v_fmac_f32_e32 v28, v6, v19
	v_fma_f32 v19, v6, v20, -v4
	ds_read2_b64 v[4:7], v14 offset0:16 offset1:212
	s_waitcnt vmcnt(4)
	v_mul_f32_e32 v20, v22, v11
	v_mul_f32_e32 v11, v21, v11
	v_fmac_f32_e32 v20, v21, v10
	v_fma_f32 v21, v22, v10, -v11
	s_waitcnt lgkmcnt(0)
	v_mul_f32_e32 v22, v9, v5
	v_fmac_f32_e32 v22, v8, v4
	v_mul_f32_e32 v4, v9, v4
	v_fma_f32 v49, v8, v5, -v4
	v_add_u32_e32 v4, 0x3000, v42
	ds_read2_b64 v[8:11], v4 offset0:32 offset1:228
	s_waitcnt vmcnt(3)
	v_mul_f32_e32 v4, v6, v16
	v_fma_f32 v51, v7, v15, -v4
	v_mul_f32_e32 v50, v7, v16
	v_fmac_f32_e32 v50, v6, v15
	s_waitcnt lgkmcnt(0)
	v_mul_f32_e32 v52, v9, v18
	v_mul_f32_e32 v4, v8, v18
	v_fmac_f32_e32 v52, v8, v17
	v_fma_f32 v17, v9, v17, -v4
	v_add_u32_e32 v4, 0x3c00, v42
	ds_read2_b64 v[4:7], v4 offset0:40 offset1:236
	s_waitcnt vmcnt(2)
	v_mul_f32_e32 v8, v13, v11
	v_fmac_f32_e32 v8, v12, v10
	v_mul_f32_e32 v9, v13, v10
	v_fma_f32 v9, v12, v11, -v9
	s_waitcnt vmcnt(1) lgkmcnt(0)
	v_mul_f32_e32 v18, v5, v24
	v_fmac_f32_e32 v18, v4, v23
	v_mul_f32_e32 v4, v4, v24
	v_fma_f32 v23, v5, v23, -v4
	s_waitcnt vmcnt(0)
	v_mul_f32_e32 v24, v7, v26
	v_mul_f32_e32 v4, v6, v26
	v_sub_f32_e32 v11, v30, v19
	v_sub_f32_e32 v12, v48, v8
	v_fmac_f32_e32 v24, v6, v25
	v_fma_f32 v25, v7, v25, -v4
	v_sub_f32_e32 v8, v27, v9
	v_fma_f32 v4, v48, 2.0, -v12
	v_sub_f32_e32 v9, v11, v12
	v_mov_b32_e32 v12, 12
	v_mul_u32_u24_sdwa v12, v31, v12 dst_sel:DWORD dst_unused:UNUSED_PAD src0_sel:BYTE_1 src1_sel:DWORD
	v_sub_f32_e32 v10, v29, v28
	v_or_b32_sdwa v19, v12, v41 dst_sel:DWORD dst_unused:UNUSED_PAD src0_sel:DWORD src1_sel:BYTE_0
	v_add_u32_e32 v41, 0xfffff3c0, v43
	v_fma_f32 v6, v29, 2.0, -v10
	v_fma_f32 v7, v30, 2.0, -v11
	;; [unrolled: 1-line block ×3, first 2 shown]
	ds_read_b32 v26, v41 offset:1568
	ds_read_b32 v27, v41
	ds_read_b32 v28, v41 offset:4
	ds_read_b64 v[12:13], v41
	ds_read_b32 v29, v41 offset:1572
	ds_read_b64 v[15:16], v41 offset:1568
	v_sub_f32_e32 v4, v6, v4
	v_sub_f32_e32 v5, v7, v5
	v_add_f32_e32 v8, v10, v8
	v_mul_u32_u24_e32 v19, 0x70, v19
	v_fma_f32 v6, v6, 2.0, -v4
	v_fma_f32 v7, v7, 2.0, -v5
	;; [unrolled: 1-line block ×4, first 2 shown]
	v_add3_u32 v19, 0, v19, v40
	s_waitcnt lgkmcnt(0)
	s_barrier
	ds_write2_b64 v19, v[6:7], v[10:11] offset1:42
	ds_write2_b64 v19, v[4:5], v[8:9] offset0:84 offset1:126
	v_sub_f32_e32 v11, v13, v21
	v_sub_f32_e32 v13, v49, v23
	v_fma_f32 v5, v28, 2.0, -v11
	v_fma_f32 v7, v49, 2.0, -v13
	v_sub_f32_e32 v10, v12, v20
	v_sub_f32_e32 v12, v22, v18
	;; [unrolled: 1-line block ×3, first 2 shown]
	v_fma_f32 v4, v27, 2.0, -v10
	v_fma_f32 v6, v22, 2.0, -v12
	;; [unrolled: 1-line block ×3, first 2 shown]
	v_sub_f32_e32 v5, v11, v12
	v_mul_u32_u24_e32 v12, 12, v44
	v_sub_f32_e32 v6, v4, v6
	v_or_b32_sdwa v12, v12, v45 dst_sel:DWORD dst_unused:UNUSED_PAD src0_sel:DWORD src1_sel:BYTE_0
	v_fma_f32 v8, v4, 2.0, -v6
	v_add_f32_e32 v4, v10, v13
	v_mul_u32_u24_e32 v12, 0x70, v12
	v_fma_f32 v10, v10, 2.0, -v4
	v_fma_f32 v11, v11, 2.0, -v5
	v_add3_u32 v12, 0, v12, v40
	ds_write2_b64 v12, v[8:9], v[10:11] offset1:42
	ds_write2_b64 v12, v[6:7], v[4:5] offset0:84 offset1:126
	v_sub_f32_e32 v6, v15, v52
	v_sub_f32_e32 v7, v16, v17
	;; [unrolled: 1-line block ×4, first 2 shown]
	v_mul_u32_u24_e32 v15, 12, v46
	v_fma_f32 v10, v26, 2.0, -v6
	v_fma_f32 v11, v29, 2.0, -v7
	;; [unrolled: 1-line block ×4, first 2 shown]
	v_or_b32_sdwa v15, v15, v47 dst_sel:DWORD dst_unused:UNUSED_PAD src0_sel:DWORD src1_sel:BYTE_0
	v_sub_f32_e32 v8, v10, v8
	v_sub_f32_e32 v9, v11, v9
	v_add_f32_e32 v12, v6, v12
	v_sub_f32_e32 v13, v7, v13
	v_mul_u32_u24_e32 v15, 0x70, v15
	v_fma_f32 v10, v10, 2.0, -v8
	v_fma_f32 v11, v11, 2.0, -v9
	;; [unrolled: 1-line block ×4, first 2 shown]
	v_add3_u32 v15, 0, v15, v40
	ds_write2_b64 v15, v[10:11], v[6:7] offset1:42
	ds_write2_b64 v15, v[8:9], v[12:13] offset0:84 offset1:126
	s_waitcnt lgkmcnt(0)
	s_barrier
	ds_read_b64 v[18:19], v42
	ds_read_b64 v[30:31], v42 offset:2688
	ds_read_b64 v[28:29], v42 offset:5376
	;; [unrolled: 1-line block ×6, first 2 shown]
                                        ; implicit-def: $vgpr17
                                        ; implicit-def: $vgpr15
	s_and_saveexec_b64 s[2:3], s[0:1]
	s_cbranch_execz .LBB0_8
; %bb.7:
	ds_read2_b32 v[4:5], v41 offset1:1
	ds_read2_b32 v[6:7], v14 offset0:200 offset1:201
	ds_read_b64 v[10:11], v42 offset:4256
	ds_read_b64 v[8:9], v42 offset:9632
	;; [unrolled: 1-line block ×5, first 2 shown]
.LBB0_8:
	s_or_b64 exec, exec, s[2:3]
	v_mul_lo_u16_e32 v45, 22, v38
	v_lshrrev_b16_e32 v57, 8, v45
	v_mul_lo_u16_e32 v45, 12, v57
	v_sub_u16_e32 v45, v38, v45
	v_and_b32_e32 v58, 0xff, v45
	v_mul_u32_u24_e32 v45, 6, v58
	v_lshlrev_b32_e32 v59, 3, v45
	global_load_dwordx4 v[45:48], v59, s[16:17] offset:104
	global_load_dwordx4 v[49:52], v59, s[16:17] offset:88
	;; [unrolled: 1-line block ×3, first 2 shown]
	s_mov_b32 s11, 0x3f3bfb3b
	s_mov_b32 s13, 0xbf3bfb3b
	;; [unrolled: 1-line block ×4, first 2 shown]
	s_waitcnt vmcnt(0) lgkmcnt(0)
	s_barrier
	v_add_u32_e32 v44, 0x620, v41
	v_mul_f32_e32 v59, v54, v31
	v_fmac_f32_e32 v59, v53, v30
	v_mul_f32_e32 v30, v54, v30
	v_fma_f32 v30, v53, v31, -v30
	v_mul_f32_e32 v31, v56, v29
	v_fmac_f32_e32 v31, v55, v28
	v_mul_f32_e32 v28, v56, v28
	v_fma_f32 v28, v55, v29, -v28
	v_mul_f32_e32 v29, v50, v27
	v_fmac_f32_e32 v29, v49, v26
	v_mul_f32_e32 v26, v50, v26
	v_fma_f32 v26, v49, v27, -v26
	v_mul_f32_e32 v27, v52, v25
	v_fmac_f32_e32 v27, v51, v24
	v_mul_f32_e32 v24, v52, v24
	v_fma_f32 v24, v51, v25, -v24
	v_mul_f32_e32 v25, v46, v23
	v_fmac_f32_e32 v25, v45, v22
	v_mul_f32_e32 v22, v46, v22
	v_fma_f32 v22, v45, v23, -v22
	v_mul_f32_e32 v23, v48, v21
	v_fmac_f32_e32 v23, v47, v20
	v_mul_f32_e32 v20, v48, v20
	v_fma_f32 v20, v47, v21, -v20
	v_add_f32_e32 v21, v59, v23
	v_add_f32_e32 v45, v30, v20
	v_sub_f32_e32 v20, v30, v20
	v_add_f32_e32 v30, v31, v25
	v_add_f32_e32 v46, v28, v22
	v_sub_f32_e32 v25, v31, v25
	v_sub_f32_e32 v22, v28, v22
	v_add_f32_e32 v28, v29, v27
	v_add_f32_e32 v31, v26, v24
	v_sub_f32_e32 v24, v24, v26
	v_add_f32_e32 v26, v30, v21
	v_sub_f32_e32 v27, v27, v29
	v_add_f32_e32 v29, v46, v45
	v_add_f32_e32 v26, v28, v26
	v_sub_f32_e32 v47, v30, v21
	v_sub_f32_e32 v21, v21, v28
	;; [unrolled: 1-line block ×3, first 2 shown]
	v_add_f32_e32 v28, v31, v29
	v_add_f32_e32 v18, v26, v18
	v_sub_f32_e32 v48, v46, v45
	v_sub_f32_e32 v45, v45, v31
	v_sub_f32_e32 v46, v31, v46
	v_add_f32_e32 v19, v28, v19
	v_mov_b32_e32 v53, v18
	v_sub_f32_e32 v23, v59, v23
	v_add_f32_e32 v49, v27, v25
	v_add_f32_e32 v50, v24, v22
	v_sub_f32_e32 v51, v27, v25
	v_sub_f32_e32 v52, v24, v22
	v_mul_f32_e32 v21, 0x3f4a47b2, v21
	v_mul_f32_e32 v29, 0x3f4a47b2, v45
	;; [unrolled: 1-line block ×4, first 2 shown]
	v_fmac_f32_e32 v53, 0xbf955555, v26
	v_mov_b32_e32 v26, v19
	v_sub_f32_e32 v27, v23, v27
	v_sub_f32_e32 v24, v20, v24
	;; [unrolled: 1-line block ×4, first 2 shown]
	v_add_f32_e32 v23, v49, v23
	v_add_f32_e32 v20, v50, v20
	v_mul_f32_e32 v49, 0x3f08b237, v51
	v_mul_f32_e32 v50, 0x3f08b237, v52
	v_fmac_f32_e32 v26, 0xbf955555, v28
	v_fma_f32 v28, v47, s11, -v31
	v_fma_f32 v31, v48, s11, -v45
	;; [unrolled: 1-line block ×3, first 2 shown]
	v_fmac_f32_e32 v21, 0x3d64c772, v30
	v_fma_f32 v30, v48, s13, -v29
	v_fmac_f32_e32 v29, 0x3d64c772, v46
	v_mul_f32_e32 v51, 0xbf5ff5aa, v25
	v_mul_f32_e32 v52, 0xbf5ff5aa, v22
	v_fma_f32 v46, v25, s10, -v49
	v_fmac_f32_e32 v49, 0xbeae86e6, v27
	v_fma_f32 v47, v22, s10, -v50
	v_fmac_f32_e32 v50, 0xbeae86e6, v24
	v_add_f32_e32 v54, v29, v26
	v_add_f32_e32 v29, v45, v53
	v_mad_u32_u24 v45, v57, s7, v58
	v_fma_f32 v48, v27, s14, -v51
	v_fma_f32 v51, v24, s14, -v52
	v_add_f32_e32 v52, v21, v53
	v_fmac_f32_e32 v49, 0xbee1c552, v23
	v_fmac_f32_e32 v50, 0xbee1c552, v20
	v_mul_u32_u24_e32 v45, 0x70, v45
	v_add_f32_e32 v27, v28, v53
	v_add_f32_e32 v28, v31, v26
	;; [unrolled: 1-line block ×3, first 2 shown]
	v_fmac_f32_e32 v46, 0xbee1c552, v23
	v_fmac_f32_e32 v47, 0xbee1c552, v20
	v_fmac_f32_e32 v48, 0xbee1c552, v23
	v_fmac_f32_e32 v51, 0xbee1c552, v20
	v_add_f32_e32 v20, v50, v52
	v_sub_f32_e32 v21, v54, v49
	v_add3_u32 v45, 0, v45, v40
	v_add_f32_e32 v22, v51, v29
	v_sub_f32_e32 v23, v30, v48
	v_sub_f32_e32 v24, v27, v47
	v_add_f32_e32 v25, v46, v28
	ds_write2_b64 v45, v[18:19], v[20:21] offset1:168
	v_add_u32_e32 v18, 0x800, v45
	v_add_f32_e32 v26, v47, v27
	v_sub_f32_e32 v27, v28, v46
	v_sub_f32_e32 v28, v29, v51
	v_add_f32_e32 v29, v48, v30
	ds_write2_b64 v18, v[22:23], v[24:25] offset0:80 offset1:248
	v_add_u32_e32 v18, 0x1400, v45
	v_sub_f32_e32 v30, v52, v50
	v_add_f32_e32 v31, v49, v54
	ds_write2_b64 v18, v[26:27], v[28:29] offset0:32 offset1:200
	ds_write_b64 v45, v[30:31] offset:8064
	s_and_saveexec_b64 s[2:3], s[0:1]
	s_cbranch_execz .LBB0_10
; %bb.9:
	v_mul_lo_u16_e32 v18, 43, v32
	v_lshrrev_b16_e32 v18, 9, v18
	v_mul_lo_u16_e32 v18, 12, v18
	v_sub_u16_e32 v30, v32, v18
	v_mov_b32_e32 v18, 6
	v_mul_u32_u24_sdwa v18, v30, v18 dst_sel:DWORD dst_unused:UNUSED_PAD src0_sel:BYTE_0 src1_sel:DWORD
	v_lshlrev_b32_e32 v31, 3, v18
	global_load_dwordx4 v[18:21], v31, s[16:17] offset:72
	global_load_dwordx4 v[22:25], v31, s[16:17] offset:104
	;; [unrolled: 1-line block ×3, first 2 shown]
	s_movk_i32 s0, 0x70
	s_waitcnt vmcnt(2)
	v_mul_f32_e32 v31, v11, v19
	s_waitcnt vmcnt(1)
	v_mul_f32_e32 v45, v17, v25
	;; [unrolled: 2-line block ×3, first 2 shown]
	v_mul_f32_e32 v47, v9, v27
	v_mul_f32_e32 v48, v7, v21
	;; [unrolled: 1-line block ×9, first 2 shown]
	v_fmac_f32_e32 v31, v10, v18
	v_fmac_f32_e32 v45, v16, v24
	;; [unrolled: 1-line block ×6, first 2 shown]
	v_fma_f32 v6, v17, v24, -v25
	v_fma_f32 v8, v11, v18, -v19
	v_fma_f32 v9, v9, v26, -v27
	v_fma_f32 v10, v13, v28, -v29
	v_fma_f32 v11, v15, v22, -v23
	v_fma_f32 v7, v7, v20, -v21
	v_sub_f32_e32 v12, v31, v45
	v_sub_f32_e32 v13, v46, v47
	;; [unrolled: 1-line block ×3, first 2 shown]
	v_add_f32_e32 v15, v8, v6
	v_add_f32_e32 v16, v9, v10
	;; [unrolled: 1-line block ×6, first 2 shown]
	v_sub_f32_e32 v8, v8, v6
	v_sub_f32_e32 v6, v10, v9
	v_sub_f32_e32 v10, v7, v11
	v_sub_f32_e32 v7, v12, v13
	v_sub_f32_e32 v9, v13, v14
	v_add_f32_e32 v11, v13, v14
	v_sub_f32_e32 v13, v15, v16
	v_add_f32_e32 v22, v17, v15
	v_sub_f32_e32 v21, v16, v17
	v_sub_f32_e32 v23, v18, v19
	v_add_f32_e32 v25, v20, v18
	v_sub_f32_e32 v15, v17, v15
	v_mul_f32_e32 v17, 0x3f08b237, v9
	v_mul_f32_e32 v9, 0x3f4a47b2, v13
	v_add_f32_e32 v13, v16, v22
	v_sub_f32_e32 v24, v19, v20
	v_mul_f32_e32 v16, 0x3f4a47b2, v23
	v_add_f32_e32 v19, v19, v25
	v_mov_b32_e32 v28, v9
	v_add_f32_e32 v5, v5, v13
	v_sub_f32_e32 v26, v8, v6
	v_sub_f32_e32 v27, v6, v10
	v_add_f32_e32 v6, v6, v10
	v_sub_f32_e32 v14, v14, v12
	v_add_f32_e32 v11, v11, v12
	v_mul_f32_e32 v12, 0x3d64c772, v21
	v_mov_b32_e32 v29, v16
	v_add_f32_e32 v4, v4, v19
	v_fmac_f32_e32 v28, 0x3d64c772, v21
	v_mov_b32_e32 v21, v5
	v_sub_f32_e32 v10, v10, v8
	v_mul_f32_e32 v22, 0x3d64c772, v24
	v_add_f32_e32 v25, v6, v8
	v_fmac_f32_e32 v29, 0x3d64c772, v24
	v_mov_b32_e32 v24, v4
	v_fmac_f32_e32 v21, 0xbf955555, v13
	v_sub_f32_e32 v13, v20, v18
	v_mul_f32_e32 v8, 0xbf5ff5aa, v10
	v_mul_f32_e32 v23, 0x3f08b237, v27
	;; [unrolled: 1-line block ×3, first 2 shown]
	v_mov_b32_e32 v27, v17
	v_fmac_f32_e32 v24, 0xbf955555, v19
	v_fma_f32 v16, v13, s13, -v16
	v_fma_f32 v18, v26, s14, -v8
	;; [unrolled: 1-line block ×4, first 2 shown]
	v_mov_b32_e32 v31, v23
	v_fma_f32 v45, v7, s14, -v6
	v_fmac_f32_e32 v27, 0xbeae86e6, v7
	v_add_f32_e32 v16, v16, v24
	v_fmac_f32_e32 v18, 0xbee1c552, v25
	v_add_f32_e32 v12, v12, v21
	v_fmac_f32_e32 v14, 0xbee1c552, v11
	v_fma_f32 v6, v15, s13, -v9
	v_fmac_f32_e32 v31, 0xbeae86e6, v26
	v_fmac_f32_e32 v45, 0xbee1c552, v11
	;; [unrolled: 1-line block ×3, first 2 shown]
	v_sub_f32_e32 v8, v16, v18
	v_sub_f32_e32 v11, v12, v14
	v_fma_f32 v15, v10, s10, -v23
	v_fma_f32 v10, v13, s11, -v22
	v_add_f32_e32 v13, v14, v12
	v_add_f32_e32 v14, v18, v16
	v_mul_u32_u24_sdwa v18, v30, s0 dst_sel:DWORD dst_unused:UNUSED_PAD src0_sel:BYTE_0 src1_sel:DWORD
	v_fmac_f32_e32 v31, 0xbee1c552, v25
	v_add_f32_e32 v19, v28, v21
	v_add_f32_e32 v28, v29, v24
	v_fmac_f32_e32 v15, 0xbee1c552, v25
	v_add_f32_e32 v17, v10, v24
	v_add3_u32 v18, 0, v18, v40
	v_add_f32_e32 v29, v6, v21
	v_add_f32_e32 v7, v27, v19
	;; [unrolled: 1-line block ×3, first 2 shown]
	v_sub_f32_e32 v12, v17, v15
	v_sub_f32_e32 v17, v19, v27
	v_add_f32_e32 v16, v31, v28
	v_add_u32_e32 v19, 0x2400, v18
	v_sub_f32_e32 v15, v29, v45
	ds_write2_b64 v19, v[4:5], v[16:17] offset0:24 offset1:192
	v_add_u32_e32 v4, 0x2e00, v18
	v_add_f32_e32 v9, v45, v29
	ds_write2_b64 v4, v[14:15], v[12:13] offset0:40 offset1:208
	v_add_u32_e32 v4, 0x3800, v18
	v_sub_f32_e32 v6, v28, v31
	ds_write2_b64 v4, v[10:11], v[8:9] offset0:56 offset1:224
	ds_write_b64 v18, v[6:7] offset:17472
.LBB0_10:
	s_or_b64 exec, exec, s[2:3]
	s_movk_i32 s0, 0x3d4
	v_add_u32_e32 v4, 0xffffffba, v38
	v_cmp_gt_u32_e64 s[0:1], s0, v0
	v_cndmask_b32_e64 v6, v4, v32, s[0:1]
	v_mov_b32_e32 v7, 0
	v_lshlrev_b64 v[4:5], 3, v[6:7]
	v_mov_b32_e32 v17, s17
	v_add_co_u32_e64 v10, s[0:1], s16, v4
	v_addc_co_u32_e64 v11, s[0:1], v17, v5, s[0:1]
	s_movk_i32 s0, 0x310
	v_subrev_u32_e32 v4, 56, v38
	v_cmp_gt_u32_e64 s[0:1], s0, v0
	v_cndmask_b32_e64 v8, v4, v33, s[0:1]
	v_mov_b32_e32 v9, v7
	v_lshlrev_b64 v[4:5], 3, v[8:9]
	v_lshlrev_b32_e32 v16, 3, v38
	v_add_co_u32_e64 v12, s[0:1], s16, v4
	v_addc_co_u32_e64 v13, s[0:1], v17, v5, s[0:1]
	s_movk_i32 s0, 0x24c
	v_subrev_u32_e32 v4, 42, v38
	v_cmp_gt_u32_e64 s[0:1], s0, v0
	v_cndmask_b32_e64 v4, v4, v36, s[0:1]
	v_mov_b32_e32 v5, v7
	v_lshlrev_b64 v[14:15], 3, v[4:5]
	v_subrev_u32_e32 v5, 28, v38
	v_add_co_u32_e64 v14, s[0:1], s16, v14
	v_addc_co_u32_e64 v15, s[0:1], v17, v15, s[0:1]
	s_movk_i32 s0, 0x188
	v_cmp_gt_u32_e64 s[0:1], s0, v0
	s_waitcnt lgkmcnt(0)
	s_barrier
	global_load_dwordx2 v[20:21], v16, s[16:17] offset:648
	global_load_dwordx2 v[22:23], v[10:11], off offset:648
	global_load_dwordx2 v[24:25], v[12:13], off offset:648
	;; [unrolled: 1-line block ×3, first 2 shown]
	v_cndmask_b32_e64 v11, v5, v34, s[0:1]
	v_mov_b32_e32 v12, v7
	v_lshlrev_b64 v[9:10], 3, v[11:12]
	v_add_u32_e32 v5, -14, v38
	v_add_co_u32_e64 v9, s[0:1], s16, v9
	v_addc_co_u32_e64 v10, s[0:1], v17, v10, s[0:1]
	s_movk_i32 s0, 0xc4
	v_cmp_gt_u32_e64 s[0:1], s0, v0
	global_load_dwordx2 v[28:29], v[9:10], off offset:648
	v_cndmask_b32_e64 v9, v5, v2, s[0:1]
	v_mov_b32_e32 v10, v7
	v_lshlrev_b64 v[12:13], 3, v[9:10]
	v_add_u32_e32 v0, 0x2400, v42
	v_add_co_u32_e64 v12, s[0:1], s16, v12
	v_addc_co_u32_e64 v13, s[0:1], v17, v13, s[0:1]
	global_load_dwordx2 v[30:31], v[12:13], off offset:648
	ds_read_b64 v[45:46], v41
	ds_read_b32 v5, v44
	ds_read_b64 v[47:48], v44
	ds_read_b32 v7, v44 offset:4
	ds_read_b64 v[49:50], v42
	ds_read_b32 v44, v43
	ds_read_b64 v[51:52], v43
	ds_read_b32 v43, v43 offset:4
	ds_read2_b64 v[12:15], v0 offset0:24 offset1:220
	v_add_u32_e32 v10, 0x3000, v42
	v_mul_u32_u24_e32 v0, 0x70, v34
	ds_read2_b64 v[16:19], v10 offset0:32 offset1:228
	v_add_u32_e32 v42, 0x3c00, v42
	v_add3_u32 v0, 0, v0, v40
	s_load_dwordx2 s[0:1], s[4:5], 0x8
	v_mov_b32_e32 v54, 3
	s_mov_b32 s11, 0x20000
	s_mov_b32 s10, -2
	s_waitcnt vmcnt(5) lgkmcnt(0)
	v_mul_f32_e32 v10, v21, v13
	v_mul_f32_e32 v21, v21, v12
	v_fmac_f32_e32 v10, v20, v12
	s_waitcnt vmcnt(4)
	v_mul_f32_e32 v40, v23, v15
	v_mul_f32_e32 v12, v23, v14
	v_fma_f32 v20, v20, v13, -v21
	v_fmac_f32_e32 v40, v22, v14
	v_fma_f32 v53, v22, v15, -v12
	ds_read2_b64 v[12:15], v42 offset0:40 offset1:236
	s_waitcnt vmcnt(3)
	v_mul_f32_e32 v42, v25, v17
	v_fmac_f32_e32 v42, v24, v16
	v_mul_f32_e32 v16, v25, v16
	v_fma_f32 v24, v24, v17, -v16
	s_waitcnt vmcnt(2)
	v_mul_f32_e32 v25, v27, v19
	v_mul_f32_e32 v16, v27, v18
	s_waitcnt vmcnt(1) lgkmcnt(0)
	v_mul_f32_e32 v27, v29, v13
	v_fmac_f32_e32 v27, v28, v12
	v_mul_f32_e32 v12, v29, v12
	v_fma_f32 v28, v28, v13, -v12
	v_mul_lo_u32 v12, v3, v38
	v_fmac_f32_e32 v25, v26, v18
	v_fma_f32 v26, v26, v19, -v16
	v_mul_lo_u32 v21, v3, v39
	s_waitcnt vmcnt(0)
	v_mul_f32_e32 v29, v15, v31
	v_fmac_f32_e32 v29, v14, v30
	v_mul_f32_e32 v13, v14, v31
	v_lshlrev_b32_sdwa v14, v54, v12 dst_sel:DWORD dst_unused:UNUSED_PAD src0_sel:DWORD src1_sel:BYTE_0
	v_lshlrev_b32_sdwa v12, v54, v12 dst_sel:DWORD dst_unused:UNUSED_PAD src0_sel:DWORD src1_sel:BYTE_1
	global_load_dwordx2 v[16:17], v14, s[0:1]
	global_load_dwordx2 v[18:19], v12, s[0:1] offset:2048
	v_lshlrev_b32_sdwa v12, v54, v21 dst_sel:DWORD dst_unused:UNUSED_PAD src0_sel:DWORD src1_sel:BYTE_0
	v_fma_f32 v30, v15, v30, -v13
	v_sub_f32_e32 v31, v50, v20
	v_lshlrev_b32_sdwa v13, v54, v21 dst_sel:DWORD dst_unused:UNUSED_PAD src0_sel:DWORD src1_sel:BYTE_1
	global_load_dwordx2 v[20:21], v12, s[0:1]
	global_load_dwordx2 v[22:23], v13, s[0:1] offset:2048
	ds_read2_b64 v[12:15], v0 offset1:196
	ds_read_b32 v0, v41
	v_sub_f32_e32 v40, v45, v40
	v_sub_f32_e32 v45, v46, v53
	;; [unrolled: 1-line block ×3, first 2 shown]
	s_waitcnt lgkmcnt(1)
	v_sub_f32_e32 v48, v12, v27
	v_sub_f32_e32 v42, v47, v42
	v_fma_f32 v47, v12, 2.0, -v48
	v_mul_lo_u32 v12, v3, v6
	v_sub_f32_e32 v10, v49, v10
	v_fma_f32 v38, v49, 2.0, -v10
	v_sub_f32_e32 v49, v13, v28
	v_sub_f32_e32 v53, v14, v29
	;; [unrolled: 1-line block ×3, first 2 shown]
	v_lshlrev_b32_sdwa v24, v54, v12 dst_sel:DWORD dst_unused:UNUSED_PAD src0_sel:DWORD src1_sel:BYTE_0
	v_fma_f32 v39, v50, 2.0, -v31
	v_fma_f32 v50, v13, 2.0, -v49
	;; [unrolled: 1-line block ×4, first 2 shown]
	v_lshlrev_b32_sdwa v27, v54, v12 dst_sel:DWORD dst_unused:UNUSED_PAD src0_sel:DWORD src1_sel:BYTE_1
	global_load_dwordx2 v[12:13], v24, s[0:1]
	global_load_dwordx2 v[14:15], v27, s[0:1] offset:2048
	ds_read_b32 v28, v41 offset:4
	v_sub_f32_e32 v51, v51, v25
	v_sub_f32_e32 v52, v52, v26
	s_waitcnt lgkmcnt(1)
	v_fma_f32 v0, v0, 2.0, -v40
	v_fma_f32 v7, v7, 2.0, -v46
	s_waitcnt lgkmcnt(0)
	v_fma_f32 v28, v28, 2.0, -v45
	v_fma_f32 v5, v5, 2.0, -v42
	s_waitcnt vmcnt(4)
	v_mul_f32_e32 v24, v17, v19
	v_mul_f32_e32 v19, v16, v19
	v_fmac_f32_e32 v19, v17, v18
	v_fma_f32 v24, v16, v18, -v24
	v_mul_f32_e32 v16, v39, v19
	v_mul_f32_e32 v17, v38, v19
	v_add_u32_e32 v19, 0x54, v6
	v_mul_lo_u32 v19, v3, v19
	s_waitcnt vmcnt(2)
	v_mul_f32_e32 v18, v21, v23
	v_mul_f32_e32 v23, v20, v23
	v_fmac_f32_e32 v16, v38, v24
	v_fma_f32 v17, v39, v24, -v17
	v_fma_f32 v29, v20, v22, -v18
	v_fmac_f32_e32 v23, v21, v22
	v_lshlrev_b32_sdwa v22, v54, v19 dst_sel:DWORD dst_unused:UNUSED_PAD src0_sel:DWORD src1_sel:BYTE_0
	v_lshlrev_b32_sdwa v24, v54, v19 dst_sel:DWORD dst_unused:UNUSED_PAD src0_sel:DWORD src1_sel:BYTE_1
	global_load_dwordx2 v[18:19], v22, s[0:1]
	global_load_dwordx2 v[20:21], v24, s[0:1] offset:2048
	v_mul_lo_u32 v24, v3, v8
	v_mul_f32_e32 v22, v31, v23
	v_mul_f32_e32 v23, v10, v23
	v_fma_f32 v23, v31, v29, -v23
	v_lshlrev_b32_sdwa v30, v54, v24 dst_sel:DWORD dst_unused:UNUSED_PAD src0_sel:DWORD src1_sel:BYTE_0
	v_lshlrev_b32_sdwa v31, v54, v24 dst_sel:DWORD dst_unused:UNUSED_PAD src0_sel:DWORD src1_sel:BYTE_1
	global_load_dwordx2 v[24:25], v30, s[0:1]
	global_load_dwordx2 v[26:27], v31, s[0:1] offset:2048
	v_fmac_f32_e32 v22, v10, v29
	s_waitcnt vmcnt(4)
	v_mul_f32_e32 v10, v13, v15
	v_fma_f32 v10, v12, v14, -v10
	v_mul_f32_e32 v15, v12, v15
	v_add_u32_e32 v12, 0x54, v8
	v_fmac_f32_e32 v15, v13, v14
	v_mul_lo_u32 v14, v3, v12
	v_mul_f32_e32 v13, v0, v15
	v_mul_f32_e32 v12, v28, v15
	v_fma_f32 v13, v28, v10, -v13
	v_lshlrev_b32_sdwa v30, v54, v14 dst_sel:DWORD dst_unused:UNUSED_PAD src0_sel:DWORD src1_sel:BYTE_0
	v_lshlrev_b32_sdwa v31, v54, v14 dst_sel:DWORD dst_unused:UNUSED_PAD src0_sel:DWORD src1_sel:BYTE_1
	global_load_dwordx2 v[14:15], v30, s[0:1]
	global_load_dwordx2 v[28:29], v31, s[0:1] offset:2048
	v_fmac_f32_e32 v12, v0, v10
	v_add_u32_e32 v30, 0x54, v4
	s_waitcnt vmcnt(4)
	v_mul_f32_e32 v10, v18, v21
	v_mul_f32_e32 v0, v19, v21
	v_fmac_f32_e32 v10, v19, v20
	v_fma_f32 v0, v18, v20, -v0
	v_mul_f32_e32 v18, v45, v10
	v_mul_f32_e32 v10, v40, v10
	v_mul_lo_u32 v21, v3, v4
	v_fma_f32 v19, v45, v0, -v10
	s_waitcnt vmcnt(2)
	v_mul_f32_e32 v10, v24, v27
	v_fmac_f32_e32 v18, v40, v0
	v_mul_f32_e32 v0, v25, v27
	v_fmac_f32_e32 v10, v25, v26
	v_fma_f32 v0, v24, v26, -v0
	v_mul_f32_e32 v20, v7, v10
	v_fmac_f32_e32 v20, v5, v0
	v_mul_f32_e32 v5, v5, v10
	v_lshlrev_b32_sdwa v10, v54, v21 dst_sel:DWORD dst_unused:UNUSED_PAD src0_sel:DWORD src1_sel:BYTE_0
	v_lshlrev_b32_sdwa v21, v54, v21 dst_sel:DWORD dst_unused:UNUSED_PAD src0_sel:DWORD src1_sel:BYTE_1
	global_load_dwordx2 v[24:25], v10, s[0:1]
	global_load_dwordx2 v[26:27], v21, s[0:1] offset:2048
	v_mul_lo_u32 v10, v3, v30
	v_fma_f32 v21, v7, v0, -v5
	s_waitcnt vmcnt(2)
	v_mul_f32_e32 v0, v15, v29
	v_fma_f32 v0, v14, v28, -v0
	v_lshlrev_b32_sdwa v5, v54, v10 dst_sel:DWORD dst_unused:UNUSED_PAD src0_sel:DWORD src1_sel:BYTE_0
	v_lshlrev_b32_sdwa v7, v54, v10 dst_sel:DWORD dst_unused:UNUSED_PAD src0_sel:DWORD src1_sel:BYTE_1
	global_load_dwordx2 v[30:31], v5, s[0:1]
	global_load_dwordx2 v[38:39], v7, s[0:1] offset:2048
	v_mul_lo_u32 v7, v3, v11
	v_mul_f32_e32 v5, v14, v29
	v_fmac_f32_e32 v5, v15, v28
	v_mul_f32_e32 v14, v46, v5
	v_mul_f32_e32 v5, v42, v5
	v_fma_f32 v15, v46, v0, -v5
	v_lshlrev_b32_sdwa v5, v54, v7 dst_sel:DWORD dst_unused:UNUSED_PAD src0_sel:DWORD src1_sel:BYTE_0
	v_lshlrev_b32_sdwa v7, v54, v7 dst_sel:DWORD dst_unused:UNUSED_PAD src0_sel:DWORD src1_sel:BYTE_1
	global_load_dwordx2 v[28:29], v5, s[0:1]
	global_load_dwordx2 v[40:41], v7, s[0:1] offset:2048
	v_fma_f32 v7, v43, 2.0, -v52
	v_fmac_f32_e32 v14, v42, v0
	v_fma_f32 v5, v44, 2.0, -v51
	s_waitcnt vmcnt(4)
	v_mul_f32_e32 v10, v24, v27
	v_mul_f32_e32 v0, v25, v27
	v_fmac_f32_e32 v10, v25, v26
	v_fma_f32 v0, v24, v26, -v0
	v_mul_f32_e32 v24, v7, v10
	v_fmac_f32_e32 v24, v5, v0
	v_mul_f32_e32 v5, v5, v10
	v_fma_f32 v25, v7, v0, -v5
	v_add_u32_e32 v5, 0x54, v11
	v_mul_lo_u32 v5, v3, v5
	s_waitcnt vmcnt(2)
	v_mul_f32_e32 v0, v31, v39
	v_mul_f32_e32 v7, v30, v39
	v_fma_f32 v0, v30, v38, -v0
	v_lshlrev_b32_sdwa v10, v54, v5 dst_sel:DWORD dst_unused:UNUSED_PAD src0_sel:DWORD src1_sel:BYTE_0
	v_fmac_f32_e32 v7, v31, v38
	v_lshlrev_b32_sdwa v5, v54, v5 dst_sel:DWORD dst_unused:UNUSED_PAD src0_sel:DWORD src1_sel:BYTE_1
	global_load_dwordx2 v[26:27], v10, s[0:1]
	global_load_dwordx2 v[30:31], v5, s[0:1] offset:2048
	v_mul_lo_u32 v10, v3, v9
	s_waitcnt vmcnt(2)
	v_mul_f32_e32 v5, v29, v41
	v_mul_f32_e32 v58, v28, v41
	v_add_u32_e32 v41, 0x54, v9
	v_mul_lo_u32 v3, v3, v41
	v_fma_f32 v5, v28, v40, -v5
	v_fmac_f32_e32 v58, v29, v40
	v_lshlrev_b32_sdwa v40, v54, v10 dst_sel:DWORD dst_unused:UNUSED_PAD src0_sel:DWORD src1_sel:BYTE_0
	v_lshlrev_b32_sdwa v10, v54, v10 dst_sel:DWORD dst_unused:UNUSED_PAD src0_sel:DWORD src1_sel:BYTE_1
	global_load_dwordx2 v[28:29], v40, s[0:1]
	global_load_dwordx2 v[38:39], v10, s[0:1] offset:2048
	v_lshlrev_b32_sdwa v10, v54, v3 dst_sel:DWORD dst_unused:UNUSED_PAD src0_sel:DWORD src1_sel:BYTE_0
	v_lshlrev_b32_sdwa v3, v54, v3 dst_sel:DWORD dst_unused:UNUSED_PAD src0_sel:DWORD src1_sel:BYTE_1
	global_load_dwordx2 v[42:43], v10, s[0:1]
	global_load_dwordx2 v[44:45], v3, s[0:1] offset:2048
	v_mul_f32_e32 v40, v52, v7
	v_mul_f32_e32 v7, v51, v7
	v_fmac_f32_e32 v40, v51, v0
	v_fma_f32 v41, v52, v0, -v7
	v_mul_f32_e32 v46, v50, v58
	v_mul_f32_e32 v0, v47, v58
	v_fmac_f32_e32 v46, v47, v5
	v_fma_f32 v47, v50, v5, -v0
	buffer_store_dwordx2 v[16:17], v37, s[8:11], s6 offen
	buffer_store_dwordx2 v[22:23], v35, s[8:11], s6 offen
	s_waitcnt vmcnt(6)
	v_mul_f32_e32 v3, v26, v31
	v_mul_f32_e32 v0, v27, v31
	v_fmac_f32_e32 v3, v27, v30
	v_fma_f32 v0, v26, v30, -v0
	v_mul_f32_e32 v26, v49, v3
	v_mul_f32_e32 v3, v48, v3
	v_fma_f32 v27, v49, v0, -v3
	v_fmac_f32_e32 v26, v48, v0
	s_waitcnt vmcnt(4)
	v_mul_f32_e32 v3, v28, v39
	v_mul_f32_e32 v0, v29, v39
	v_fmac_f32_e32 v3, v29, v38
	v_fma_f32 v0, v28, v38, -v0
	v_mul_f32_e32 v28, v57, v3
	v_mul_f32_e32 v3, v56, v3
	v_fma_f32 v29, v57, v0, -v3
	s_waitcnt vmcnt(2)
	v_mul_f32_e32 v3, v42, v45
	v_fmac_f32_e32 v28, v56, v0
	v_mul_f32_e32 v0, v43, v45
	v_fmac_f32_e32 v3, v43, v44
	v_fma_f32 v0, v42, v44, -v0
	v_mul_f32_e32 v30, v55, v3
	v_mul_f32_e32 v3, v53, v3
	v_fmac_f32_e32 v30, v53, v0
	v_fma_f32 v31, v55, v0, -v3
	v_sub_u32_e32 v0, v32, v6
	v_add_u32_e32 v0, v0, v32
	v_mul_lo_u32 v3, s12, v0
	v_add_u32_e32 v0, 0x54, v0
	v_mul_lo_u32 v0, s12, v0
	v_add_lshl_u32 v3, v1, v3, 3
	v_cndmask_b32_e32 v3, -1, v3, vcc
	buffer_store_dwordx2 v[12:13], v3, s[8:11], s6 offen
	v_sub_u32_e32 v3, v33, v8
	v_add_u32_e32 v3, v3, v33
	v_mul_lo_u32 v5, s12, v3
	v_add_lshl_u32 v0, v1, v0, 3
	v_cndmask_b32_e32 v0, -1, v0, vcc
	buffer_store_dwordx2 v[18:19], v0, s[8:11], s6 offen
	v_add_u32_e32 v0, 0x54, v3
	v_mul_lo_u32 v0, s12, v0
	v_add_lshl_u32 v3, v1, v5, 3
	v_cndmask_b32_e32 v3, -1, v3, vcc
	buffer_store_dwordx2 v[20:21], v3, s[8:11], s6 offen
	v_sub_u32_e32 v3, v36, v4
	v_add_u32_e32 v3, v3, v36
	v_add_lshl_u32 v0, v1, v0, 3
	v_mul_lo_u32 v4, s12, v3
	v_cndmask_b32_e32 v0, -1, v0, vcc
	buffer_store_dwordx2 v[14:15], v0, s[8:11], s6 offen
	v_add_u32_e32 v0, 0x54, v3
	v_mul_lo_u32 v0, s12, v0
	v_add_lshl_u32 v3, v1, v4, 3
	v_cndmask_b32_e32 v3, -1, v3, vcc
	buffer_store_dwordx2 v[24:25], v3, s[8:11], s6 offen
	v_sub_u32_e32 v3, v34, v11
	v_add_lshl_u32 v0, v1, v0, 3
	v_add_u32_e32 v3, v3, v34
	v_cndmask_b32_e32 v0, -1, v0, vcc
	v_mul_lo_u32 v4, s12, v3
	buffer_store_dwordx2 v[40:41], v0, s[8:11], s6 offen
	v_add_u32_e32 v0, 0x54, v3
	v_mul_lo_u32 v0, s12, v0
	v_add_lshl_u32 v3, v1, v4, 3
	v_cndmask_b32_e32 v3, -1, v3, vcc
	buffer_store_dwordx2 v[46:47], v3, s[8:11], s6 offen
	v_add_lshl_u32 v0, v1, v0, 3
	v_sub_u32_e32 v3, v2, v9
	v_cndmask_b32_e32 v0, -1, v0, vcc
	v_add_u32_e32 v2, v3, v2
	buffer_store_dwordx2 v[26:27], v0, s[8:11], s6 offen
	v_add_u32_e32 v0, 0x54, v2
	v_mul_lo_u32 v3, s12, v2
	v_mul_lo_u32 v0, s12, v0
	v_add_lshl_u32 v2, v1, v3, 3
	v_add_lshl_u32 v0, v1, v0, 3
	v_cndmask_b32_e32 v2, -1, v2, vcc
	v_cndmask_b32_e32 v0, -1, v0, vcc
	buffer_store_dwordx2 v[28:29], v2, s[8:11], s6 offen
	buffer_store_dwordx2 v[30:31], v0, s[8:11], s6 offen
	s_endpgm
	.section	.rodata,"a",@progbits
	.p2align	6, 0x0
	.amdhsa_kernel fft_rtc_back_len168_factors_3_4_7_2_wgs_196_tpt_14_dim3_sp_ip_CI_sbcc_twdbase8_2step_dirReg_intrinsicReadWrite
		.amdhsa_group_segment_fixed_size 0
		.amdhsa_private_segment_fixed_size 0
		.amdhsa_kernarg_size 88
		.amdhsa_user_sgpr_count 6
		.amdhsa_user_sgpr_private_segment_buffer 1
		.amdhsa_user_sgpr_dispatch_ptr 0
		.amdhsa_user_sgpr_queue_ptr 0
		.amdhsa_user_sgpr_kernarg_segment_ptr 1
		.amdhsa_user_sgpr_dispatch_id 0
		.amdhsa_user_sgpr_flat_scratch_init 0
		.amdhsa_user_sgpr_private_segment_size 0
		.amdhsa_uses_dynamic_stack 0
		.amdhsa_system_sgpr_private_segment_wavefront_offset 0
		.amdhsa_system_sgpr_workgroup_id_x 1
		.amdhsa_system_sgpr_workgroup_id_y 0
		.amdhsa_system_sgpr_workgroup_id_z 0
		.amdhsa_system_sgpr_workgroup_info 0
		.amdhsa_system_vgpr_workitem_id 0
		.amdhsa_next_free_vgpr 60
		.amdhsa_next_free_sgpr 28
		.amdhsa_reserve_vcc 1
		.amdhsa_reserve_flat_scratch 0
		.amdhsa_float_round_mode_32 0
		.amdhsa_float_round_mode_16_64 0
		.amdhsa_float_denorm_mode_32 3
		.amdhsa_float_denorm_mode_16_64 3
		.amdhsa_dx10_clamp 1
		.amdhsa_ieee_mode 1
		.amdhsa_fp16_overflow 0
		.amdhsa_exception_fp_ieee_invalid_op 0
		.amdhsa_exception_fp_denorm_src 0
		.amdhsa_exception_fp_ieee_div_zero 0
		.amdhsa_exception_fp_ieee_overflow 0
		.amdhsa_exception_fp_ieee_underflow 0
		.amdhsa_exception_fp_ieee_inexact 0
		.amdhsa_exception_int_div_zero 0
	.end_amdhsa_kernel
	.text
.Lfunc_end0:
	.size	fft_rtc_back_len168_factors_3_4_7_2_wgs_196_tpt_14_dim3_sp_ip_CI_sbcc_twdbase8_2step_dirReg_intrinsicReadWrite, .Lfunc_end0-fft_rtc_back_len168_factors_3_4_7_2_wgs_196_tpt_14_dim3_sp_ip_CI_sbcc_twdbase8_2step_dirReg_intrinsicReadWrite
                                        ; -- End function
	.section	.AMDGPU.csdata,"",@progbits
; Kernel info:
; codeLenInByte = 6600
; NumSgprs: 32
; NumVgprs: 60
; ScratchSize: 0
; MemoryBound: 0
; FloatMode: 240
; IeeeMode: 1
; LDSByteSize: 0 bytes/workgroup (compile time only)
; SGPRBlocks: 3
; VGPRBlocks: 14
; NumSGPRsForWavesPerEU: 32
; NumVGPRsForWavesPerEU: 60
; Occupancy: 4
; WaveLimiterHint : 0
; COMPUTE_PGM_RSRC2:SCRATCH_EN: 0
; COMPUTE_PGM_RSRC2:USER_SGPR: 6
; COMPUTE_PGM_RSRC2:TRAP_HANDLER: 0
; COMPUTE_PGM_RSRC2:TGID_X_EN: 1
; COMPUTE_PGM_RSRC2:TGID_Y_EN: 0
; COMPUTE_PGM_RSRC2:TGID_Z_EN: 0
; COMPUTE_PGM_RSRC2:TIDIG_COMP_CNT: 0
	.type	__hip_cuid_5cdcd7a0309216ec,@object ; @__hip_cuid_5cdcd7a0309216ec
	.section	.bss,"aw",@nobits
	.globl	__hip_cuid_5cdcd7a0309216ec
__hip_cuid_5cdcd7a0309216ec:
	.byte	0                               ; 0x0
	.size	__hip_cuid_5cdcd7a0309216ec, 1

	.ident	"AMD clang version 19.0.0git (https://github.com/RadeonOpenCompute/llvm-project roc-6.4.0 25133 c7fe45cf4b819c5991fe208aaa96edf142730f1d)"
	.section	".note.GNU-stack","",@progbits
	.addrsig
	.addrsig_sym __hip_cuid_5cdcd7a0309216ec
	.amdgpu_metadata
---
amdhsa.kernels:
  - .args:
      - .actual_access:  read_only
        .address_space:  global
        .offset:         0
        .size:           8
        .value_kind:     global_buffer
      - .address_space:  global
        .offset:         8
        .size:           8
        .value_kind:     global_buffer
      - .actual_access:  read_only
        .address_space:  global
        .offset:         16
        .size:           8
        .value_kind:     global_buffer
      - .actual_access:  read_only
        .address_space:  global
        .offset:         24
        .size:           8
        .value_kind:     global_buffer
      - .offset:         32
        .size:           8
        .value_kind:     by_value
      - .actual_access:  read_only
        .address_space:  global
        .offset:         40
        .size:           8
        .value_kind:     global_buffer
      - .actual_access:  read_only
        .address_space:  global
        .offset:         48
        .size:           8
        .value_kind:     global_buffer
      - .offset:         56
        .size:           4
        .value_kind:     by_value
      - .actual_access:  read_only
        .address_space:  global
        .offset:         64
        .size:           8
        .value_kind:     global_buffer
      - .actual_access:  read_only
        .address_space:  global
        .offset:         72
        .size:           8
        .value_kind:     global_buffer
      - .address_space:  global
        .offset:         80
        .size:           8
        .value_kind:     global_buffer
    .group_segment_fixed_size: 0
    .kernarg_segment_align: 8
    .kernarg_segment_size: 88
    .language:       OpenCL C
    .language_version:
      - 2
      - 0
    .max_flat_workgroup_size: 196
    .name:           fft_rtc_back_len168_factors_3_4_7_2_wgs_196_tpt_14_dim3_sp_ip_CI_sbcc_twdbase8_2step_dirReg_intrinsicReadWrite
    .private_segment_fixed_size: 0
    .sgpr_count:     32
    .sgpr_spill_count: 0
    .symbol:         fft_rtc_back_len168_factors_3_4_7_2_wgs_196_tpt_14_dim3_sp_ip_CI_sbcc_twdbase8_2step_dirReg_intrinsicReadWrite.kd
    .uniform_work_group_size: 1
    .uses_dynamic_stack: false
    .vgpr_count:     60
    .vgpr_spill_count: 0
    .wavefront_size: 64
amdhsa.target:   amdgcn-amd-amdhsa--gfx906
amdhsa.version:
  - 1
  - 2
...

	.end_amdgpu_metadata
